;; amdgpu-corpus repo=ROCm/rocFFT kind=compiled arch=gfx1100 opt=O3
	.text
	.amdgcn_target "amdgcn-amd-amdhsa--gfx1100"
	.amdhsa_code_object_version 6
	.protected	fft_rtc_fwd_len44_factors_11_4_wgs_64_tpt_4_halfLds_sp_ip_CI_sbrr_dirReg ; -- Begin function fft_rtc_fwd_len44_factors_11_4_wgs_64_tpt_4_halfLds_sp_ip_CI_sbrr_dirReg
	.globl	fft_rtc_fwd_len44_factors_11_4_wgs_64_tpt_4_halfLds_sp_ip_CI_sbrr_dirReg
	.p2align	8
	.type	fft_rtc_fwd_len44_factors_11_4_wgs_64_tpt_4_halfLds_sp_ip_CI_sbrr_dirReg,@function
fft_rtc_fwd_len44_factors_11_4_wgs_64_tpt_4_halfLds_sp_ip_CI_sbrr_dirReg: ; @fft_rtc_fwd_len44_factors_11_4_wgs_64_tpt_4_halfLds_sp_ip_CI_sbrr_dirReg
; %bb.0:
	s_clause 0x2
	s_load_b64 s[12:13], s[0:1], 0x18
	s_load_b128 s[4:7], s[0:1], 0x0
	s_load_b64 s[10:11], s[0:1], 0x50
	v_lshrrev_b32_e32 v11, 2, v0
	v_mov_b32_e32 v1, 0
	v_mov_b32_e32 v3, 0
	;; [unrolled: 1-line block ×3, first 2 shown]
	s_delay_alu instid0(VALU_DEP_4) | instskip(NEXT) | instid1(VALU_DEP_4)
	v_lshl_or_b32 v5, s15, 4, v11
	v_mov_b32_e32 v6, v1
	s_waitcnt lgkmcnt(0)
	s_load_b64 s[8:9], s[12:13], 0x0
	v_cmp_lt_u64_e64 s2, s[6:7], 2
	s_delay_alu instid0(VALU_DEP_1)
	s_and_b32 vcc_lo, exec_lo, s2
	s_cbranch_vccnz .LBB0_8
; %bb.1:
	s_load_b64 s[2:3], s[0:1], 0x10
	v_mov_b32_e32 v3, 0
	s_add_u32 s14, s12, 8
	v_mov_b32_e32 v4, 0
	s_addc_u32 s15, s13, 0
	s_mov_b64 s[18:19], 1
	s_waitcnt lgkmcnt(0)
	s_add_u32 s16, s2, 8
	s_addc_u32 s17, s3, 0
.LBB0_2:                                ; =>This Inner Loop Header: Depth=1
	s_load_b64 s[20:21], s[16:17], 0x0
                                        ; implicit-def: $vgpr7_vgpr8
	s_mov_b32 s2, exec_lo
	s_waitcnt lgkmcnt(0)
	v_or_b32_e32 v2, s21, v6
	s_delay_alu instid0(VALU_DEP_1)
	v_cmpx_ne_u64_e32 0, v[1:2]
	s_xor_b32 s3, exec_lo, s2
	s_cbranch_execz .LBB0_4
; %bb.3:                                ;   in Loop: Header=BB0_2 Depth=1
	v_cvt_f32_u32_e32 v2, s20
	v_cvt_f32_u32_e32 v7, s21
	s_sub_u32 s2, 0, s20
	s_subb_u32 s22, 0, s21
	s_delay_alu instid0(VALU_DEP_1) | instskip(NEXT) | instid1(VALU_DEP_1)
	v_fmac_f32_e32 v2, 0x4f800000, v7
	v_rcp_f32_e32 v2, v2
	s_waitcnt_depctr 0xfff
	v_mul_f32_e32 v2, 0x5f7ffffc, v2
	s_delay_alu instid0(VALU_DEP_1) | instskip(NEXT) | instid1(VALU_DEP_1)
	v_mul_f32_e32 v7, 0x2f800000, v2
	v_trunc_f32_e32 v7, v7
	s_delay_alu instid0(VALU_DEP_1) | instskip(SKIP_1) | instid1(VALU_DEP_2)
	v_fmac_f32_e32 v2, 0xcf800000, v7
	v_cvt_u32_f32_e32 v7, v7
	v_cvt_u32_f32_e32 v2, v2
	s_delay_alu instid0(VALU_DEP_2) | instskip(NEXT) | instid1(VALU_DEP_2)
	v_mul_lo_u32 v8, s2, v7
	v_mul_hi_u32 v9, s2, v2
	v_mul_lo_u32 v10, s22, v2
	s_delay_alu instid0(VALU_DEP_2) | instskip(SKIP_1) | instid1(VALU_DEP_2)
	v_add_nc_u32_e32 v8, v9, v8
	v_mul_lo_u32 v9, s2, v2
	v_add_nc_u32_e32 v8, v8, v10
	s_delay_alu instid0(VALU_DEP_2) | instskip(NEXT) | instid1(VALU_DEP_2)
	v_mul_hi_u32 v10, v2, v9
	v_mul_lo_u32 v12, v2, v8
	v_mul_hi_u32 v13, v2, v8
	v_mul_hi_u32 v14, v7, v9
	v_mul_lo_u32 v9, v7, v9
	v_mul_hi_u32 v15, v7, v8
	v_mul_lo_u32 v8, v7, v8
	v_add_co_u32 v10, vcc_lo, v10, v12
	v_add_co_ci_u32_e32 v12, vcc_lo, 0, v13, vcc_lo
	s_delay_alu instid0(VALU_DEP_2) | instskip(NEXT) | instid1(VALU_DEP_2)
	v_add_co_u32 v9, vcc_lo, v10, v9
	v_add_co_ci_u32_e32 v9, vcc_lo, v12, v14, vcc_lo
	v_add_co_ci_u32_e32 v10, vcc_lo, 0, v15, vcc_lo
	s_delay_alu instid0(VALU_DEP_2) | instskip(NEXT) | instid1(VALU_DEP_2)
	v_add_co_u32 v8, vcc_lo, v9, v8
	v_add_co_ci_u32_e32 v9, vcc_lo, 0, v10, vcc_lo
	s_delay_alu instid0(VALU_DEP_2) | instskip(NEXT) | instid1(VALU_DEP_2)
	v_add_co_u32 v2, vcc_lo, v2, v8
	v_add_co_ci_u32_e32 v7, vcc_lo, v7, v9, vcc_lo
	s_delay_alu instid0(VALU_DEP_2) | instskip(SKIP_1) | instid1(VALU_DEP_3)
	v_mul_hi_u32 v8, s2, v2
	v_mul_lo_u32 v10, s22, v2
	v_mul_lo_u32 v9, s2, v7
	s_delay_alu instid0(VALU_DEP_1) | instskip(SKIP_1) | instid1(VALU_DEP_2)
	v_add_nc_u32_e32 v8, v8, v9
	v_mul_lo_u32 v9, s2, v2
	v_add_nc_u32_e32 v8, v8, v10
	s_delay_alu instid0(VALU_DEP_2) | instskip(NEXT) | instid1(VALU_DEP_2)
	v_mul_hi_u32 v10, v2, v9
	v_mul_lo_u32 v12, v2, v8
	v_mul_hi_u32 v13, v2, v8
	v_mul_hi_u32 v14, v7, v9
	v_mul_lo_u32 v9, v7, v9
	v_mul_hi_u32 v15, v7, v8
	v_mul_lo_u32 v8, v7, v8
	v_add_co_u32 v10, vcc_lo, v10, v12
	v_add_co_ci_u32_e32 v12, vcc_lo, 0, v13, vcc_lo
	s_delay_alu instid0(VALU_DEP_2) | instskip(NEXT) | instid1(VALU_DEP_2)
	v_add_co_u32 v9, vcc_lo, v10, v9
	v_add_co_ci_u32_e32 v9, vcc_lo, v12, v14, vcc_lo
	v_add_co_ci_u32_e32 v10, vcc_lo, 0, v15, vcc_lo
	s_delay_alu instid0(VALU_DEP_2) | instskip(NEXT) | instid1(VALU_DEP_2)
	v_add_co_u32 v8, vcc_lo, v9, v8
	v_add_co_ci_u32_e32 v9, vcc_lo, 0, v10, vcc_lo
	s_delay_alu instid0(VALU_DEP_2) | instskip(NEXT) | instid1(VALU_DEP_2)
	v_add_co_u32 v2, vcc_lo, v2, v8
	v_add_co_ci_u32_e32 v14, vcc_lo, v7, v9, vcc_lo
	s_delay_alu instid0(VALU_DEP_2) | instskip(SKIP_1) | instid1(VALU_DEP_3)
	v_mul_hi_u32 v15, v5, v2
	v_mad_u64_u32 v[9:10], null, v6, v2, 0
	v_mad_u64_u32 v[7:8], null, v5, v14, 0
	;; [unrolled: 1-line block ×3, first 2 shown]
	s_delay_alu instid0(VALU_DEP_2) | instskip(NEXT) | instid1(VALU_DEP_3)
	v_add_co_u32 v2, vcc_lo, v15, v7
	v_add_co_ci_u32_e32 v7, vcc_lo, 0, v8, vcc_lo
	s_delay_alu instid0(VALU_DEP_2) | instskip(NEXT) | instid1(VALU_DEP_2)
	v_add_co_u32 v2, vcc_lo, v2, v9
	v_add_co_ci_u32_e32 v2, vcc_lo, v7, v10, vcc_lo
	v_add_co_ci_u32_e32 v7, vcc_lo, 0, v13, vcc_lo
	s_delay_alu instid0(VALU_DEP_2) | instskip(NEXT) | instid1(VALU_DEP_2)
	v_add_co_u32 v2, vcc_lo, v2, v12
	v_add_co_ci_u32_e32 v9, vcc_lo, 0, v7, vcc_lo
	s_delay_alu instid0(VALU_DEP_2) | instskip(SKIP_1) | instid1(VALU_DEP_3)
	v_mul_lo_u32 v10, s21, v2
	v_mad_u64_u32 v[7:8], null, s20, v2, 0
	v_mul_lo_u32 v12, s20, v9
	s_delay_alu instid0(VALU_DEP_2) | instskip(NEXT) | instid1(VALU_DEP_2)
	v_sub_co_u32 v7, vcc_lo, v5, v7
	v_add3_u32 v8, v8, v12, v10
	s_delay_alu instid0(VALU_DEP_1) | instskip(NEXT) | instid1(VALU_DEP_1)
	v_sub_nc_u32_e32 v10, v6, v8
	v_subrev_co_ci_u32_e64 v10, s2, s21, v10, vcc_lo
	v_add_co_u32 v12, s2, v2, 2
	s_delay_alu instid0(VALU_DEP_1) | instskip(SKIP_3) | instid1(VALU_DEP_3)
	v_add_co_ci_u32_e64 v13, s2, 0, v9, s2
	v_sub_co_u32 v14, s2, v7, s20
	v_sub_co_ci_u32_e32 v8, vcc_lo, v6, v8, vcc_lo
	v_subrev_co_ci_u32_e64 v10, s2, 0, v10, s2
	v_cmp_le_u32_e32 vcc_lo, s20, v14
	s_delay_alu instid0(VALU_DEP_3) | instskip(SKIP_1) | instid1(VALU_DEP_4)
	v_cmp_eq_u32_e64 s2, s21, v8
	v_cndmask_b32_e64 v14, 0, -1, vcc_lo
	v_cmp_le_u32_e32 vcc_lo, s21, v10
	v_cndmask_b32_e64 v15, 0, -1, vcc_lo
	v_cmp_le_u32_e32 vcc_lo, s20, v7
	;; [unrolled: 2-line block ×3, first 2 shown]
	v_cndmask_b32_e64 v16, 0, -1, vcc_lo
	v_cmp_eq_u32_e32 vcc_lo, s21, v10
	s_delay_alu instid0(VALU_DEP_2) | instskip(SKIP_3) | instid1(VALU_DEP_3)
	v_cndmask_b32_e64 v7, v16, v7, s2
	v_cndmask_b32_e32 v10, v15, v14, vcc_lo
	v_add_co_u32 v14, vcc_lo, v2, 1
	v_add_co_ci_u32_e32 v15, vcc_lo, 0, v9, vcc_lo
	v_cmp_ne_u32_e32 vcc_lo, 0, v10
	s_delay_alu instid0(VALU_DEP_2) | instskip(NEXT) | instid1(VALU_DEP_4)
	v_cndmask_b32_e32 v8, v15, v13, vcc_lo
	v_cndmask_b32_e32 v10, v14, v12, vcc_lo
	v_cmp_ne_u32_e32 vcc_lo, 0, v7
	s_delay_alu instid0(VALU_DEP_2)
	v_dual_cndmask_b32 v7, v2, v10 :: v_dual_cndmask_b32 v8, v9, v8
.LBB0_4:                                ;   in Loop: Header=BB0_2 Depth=1
	s_and_not1_saveexec_b32 s2, s3
	s_cbranch_execz .LBB0_6
; %bb.5:                                ;   in Loop: Header=BB0_2 Depth=1
	v_cvt_f32_u32_e32 v2, s20
	s_sub_i32 s3, 0, s20
	s_delay_alu instid0(VALU_DEP_1) | instskip(SKIP_2) | instid1(VALU_DEP_1)
	v_rcp_iflag_f32_e32 v2, v2
	s_waitcnt_depctr 0xfff
	v_mul_f32_e32 v2, 0x4f7ffffe, v2
	v_cvt_u32_f32_e32 v2, v2
	s_delay_alu instid0(VALU_DEP_1) | instskip(NEXT) | instid1(VALU_DEP_1)
	v_mul_lo_u32 v7, s3, v2
	v_mul_hi_u32 v7, v2, v7
	s_delay_alu instid0(VALU_DEP_1) | instskip(NEXT) | instid1(VALU_DEP_1)
	v_add_nc_u32_e32 v2, v2, v7
	v_mul_hi_u32 v2, v5, v2
	s_delay_alu instid0(VALU_DEP_1) | instskip(SKIP_1) | instid1(VALU_DEP_2)
	v_mul_lo_u32 v7, v2, s20
	v_add_nc_u32_e32 v8, 1, v2
	v_sub_nc_u32_e32 v7, v5, v7
	s_delay_alu instid0(VALU_DEP_1) | instskip(SKIP_1) | instid1(VALU_DEP_2)
	v_subrev_nc_u32_e32 v9, s20, v7
	v_cmp_le_u32_e32 vcc_lo, s20, v7
	v_dual_cndmask_b32 v7, v7, v9 :: v_dual_cndmask_b32 v2, v2, v8
	s_delay_alu instid0(VALU_DEP_1) | instskip(NEXT) | instid1(VALU_DEP_2)
	v_cmp_le_u32_e32 vcc_lo, s20, v7
	v_add_nc_u32_e32 v8, 1, v2
	s_delay_alu instid0(VALU_DEP_1)
	v_dual_cndmask_b32 v7, v2, v8 :: v_dual_mov_b32 v8, v1
.LBB0_6:                                ;   in Loop: Header=BB0_2 Depth=1
	s_or_b32 exec_lo, exec_lo, s2
	s_load_b64 s[2:3], s[14:15], 0x0
	s_delay_alu instid0(VALU_DEP_1) | instskip(NEXT) | instid1(VALU_DEP_2)
	v_mul_lo_u32 v2, v8, s20
	v_mul_lo_u32 v12, v7, s21
	v_mad_u64_u32 v[9:10], null, v7, s20, 0
	s_add_u32 s18, s18, 1
	s_addc_u32 s19, s19, 0
	s_add_u32 s14, s14, 8
	s_addc_u32 s15, s15, 0
	;; [unrolled: 2-line block ×3, first 2 shown]
	s_delay_alu instid0(VALU_DEP_1) | instskip(SKIP_1) | instid1(VALU_DEP_2)
	v_add3_u32 v2, v10, v12, v2
	v_sub_co_u32 v9, vcc_lo, v5, v9
	v_sub_co_ci_u32_e32 v2, vcc_lo, v6, v2, vcc_lo
	s_waitcnt lgkmcnt(0)
	s_delay_alu instid0(VALU_DEP_2) | instskip(NEXT) | instid1(VALU_DEP_2)
	v_mul_lo_u32 v10, s3, v9
	v_mul_lo_u32 v2, s2, v2
	v_mad_u64_u32 v[5:6], null, s2, v9, v[3:4]
	v_cmp_ge_u64_e64 s2, s[18:19], s[6:7]
	s_delay_alu instid0(VALU_DEP_1) | instskip(NEXT) | instid1(VALU_DEP_2)
	s_and_b32 vcc_lo, exec_lo, s2
	v_add3_u32 v4, v10, v6, v2
	s_delay_alu instid0(VALU_DEP_3)
	v_mov_b32_e32 v3, v5
	s_cbranch_vccnz .LBB0_9
; %bb.7:                                ;   in Loop: Header=BB0_2 Depth=1
	v_dual_mov_b32 v5, v7 :: v_dual_mov_b32 v6, v8
	s_branch .LBB0_2
.LBB0_8:
	v_dual_mov_b32 v8, v6 :: v_dual_mov_b32 v7, v5
.LBB0_9:
	s_lshl_b64 s[2:3], s[6:7], 3
	v_and_b32_e32 v31, 3, v0
	s_add_u32 s2, s12, s2
	s_addc_u32 s3, s13, s3
                                        ; implicit-def: $vgpr35
                                        ; implicit-def: $vgpr32
	s_load_b64 s[2:3], s[2:3], 0x0
	s_load_b64 s[0:1], s[0:1], 0x20
	v_or_b32_e32 v33, 4, v31
	s_waitcnt lgkmcnt(0)
	v_mul_lo_u32 v5, s2, v8
	v_mul_lo_u32 v6, s3, v7
	v_mad_u64_u32 v[1:2], null, s2, v7, v[3:4]
	v_cmp_gt_u64_e32 vcc_lo, s[0:1], v[7:8]
	v_cmp_le_u64_e64 s0, s[0:1], v[7:8]
                                        ; implicit-def: $sgpr2_sgpr3
	s_delay_alu instid0(VALU_DEP_3) | instskip(NEXT) | instid1(VALU_DEP_2)
	v_add3_u32 v2, v6, v2, v5
	s_and_saveexec_b32 s1, s0
	s_delay_alu instid0(SALU_CYCLE_1)
	s_xor_b32 s0, exec_lo, s1
; %bb.10:
	v_or_b32_e32 v35, 4, v31
	v_or_b32_e32 v32, 8, v31
	s_mov_b64 s[2:3], 0
; %bb.11:
	s_or_saveexec_b32 s1, s0
	v_lshlrev_b64 v[0:1], 3, v[1:2]
	v_dual_mov_b32 v4, s3 :: v_dual_mov_b32 v3, s2
                                        ; implicit-def: $vgpr24
                                        ; implicit-def: $vgpr22
                                        ; implicit-def: $vgpr6
                                        ; implicit-def: $vgpr18
                                        ; implicit-def: $vgpr8
                                        ; implicit-def: $vgpr10
                                        ; implicit-def: $vgpr26
                                        ; implicit-def: $vgpr30
                                        ; implicit-def: $vgpr28
                                        ; implicit-def: $vgpr20
	s_xor_b32 exec_lo, exec_lo, s1
	s_cbranch_execz .LBB0_13
; %bb.12:
	v_or_b32_e32 v32, 8, v31
	v_mad_u64_u32 v[2:3], null, s8, v31, 0
	v_mad_u64_u32 v[4:5], null, s8, v33, 0
	s_delay_alu instid0(VALU_DEP_3)
	v_mad_u64_u32 v[6:7], null, s8, v32, 0
	v_or_b32_e32 v15, 12, v31
	v_or_b32_e32 v18, 16, v31
	;; [unrolled: 1-line block ×3, first 2 shown]
	v_add_co_u32 v30, s0, s10, v0
	v_mad_u64_u32 v[8:9], null, s9, v31, v[3:4]
	v_mad_u64_u32 v[9:10], null, s9, v33, v[5:6]
	;; [unrolled: 1-line block ×3, first 2 shown]
	v_add_co_ci_u32_e64 v37, s0, s11, v1, s0
	s_delay_alu instid0(VALU_DEP_4)
	v_mov_b32_e32 v3, v8
	v_mad_u64_u32 v[16:17], null, s8, v19, 0
	v_mov_b32_e32 v5, v9
	v_mad_u64_u32 v[8:9], null, s9, v32, v[7:8]
	v_mov_b32_e32 v9, v13
	v_lshlrev_b64 v[2:3], 3, v[2:3]
	s_delay_alu instid0(VALU_DEP_4)
	v_lshlrev_b64 v[4:5], 3, v[4:5]
	v_or_b32_e32 v25, 24, v31
	v_or_b32_e32 v26, 28, v31
	v_mad_u64_u32 v[13:14], null, s9, v15, v[9:10]
	v_mov_b32_e32 v7, v8
	v_mad_u64_u32 v[8:9], null, s8, v18, 0
	v_add_co_u32 v2, s0, v30, v2
	s_delay_alu instid0(VALU_DEP_1) | instskip(SKIP_1) | instid1(VALU_DEP_1)
	v_add_co_ci_u32_e64 v3, s0, v37, v3, s0
	v_add_co_u32 v14, s0, v30, v4
	v_add_co_ci_u32_e64 v15, s0, v37, v5, s0
	v_lshlrev_b64 v[4:5], 3, v[6:7]
	v_mov_b32_e32 v6, v9
	v_lshlrev_b64 v[9:10], 3, v[12:13]
	v_or_b32_e32 v29, 32, v31
	v_or_b32_e32 v36, 40, v31
	s_delay_alu instid0(VALU_DEP_4) | instskip(SKIP_4) | instid1(VALU_DEP_1)
	v_mad_u64_u32 v[12:13], null, s9, v18, v[6:7]
	v_add_co_u32 v6, s0, v30, v4
	v_mov_b32_e32 v4, v17
	v_add_co_ci_u32_e64 v7, s0, v37, v5, s0
	v_add_co_u32 v17, s0, v30, v9
	v_add_co_ci_u32_e64 v18, s0, v37, v10, s0
	v_mov_b32_e32 v9, v12
	v_mad_u64_u32 v[12:13], null, s9, v19, v[4:5]
	s_clause 0x3
	global_load_b64 v[3:4], v[2:3], off
	global_load_b64 v[23:24], v[14:15], off
	global_load_b64 v[21:22], v[6:7], off
	global_load_b64 v[5:6], v[17:18], off
	v_mad_u64_u32 v[19:20], null, s8, v25, 0
	v_lshlrev_b64 v[7:8], 3, v[8:9]
	v_mad_u64_u32 v[9:10], null, s8, v26, 0
	v_mov_b32_e32 v17, v12
	s_delay_alu instid0(VALU_DEP_4) | instskip(NEXT) | instid1(VALU_DEP_4)
	v_mov_b32_e32 v2, v20
	v_add_co_u32 v7, s0, v30, v7
	s_delay_alu instid0(VALU_DEP_3) | instskip(SKIP_1) | instid1(VALU_DEP_2)
	v_lshlrev_b64 v[15:16], 3, v[16:17]
	v_add_co_ci_u32_e64 v8, s0, v37, v8, s0
	v_add_co_u32 v15, s0, v30, v15
	s_delay_alu instid0(VALU_DEP_1) | instskip(SKIP_4) | instid1(VALU_DEP_3)
	v_add_co_ci_u32_e64 v16, s0, v37, v16, s0
	s_waitcnt vmcnt(3)
	v_mad_u64_u32 v[12:13], null, s9, v25, v[2:3]
	v_mad_u64_u32 v[13:14], null, s8, v29, 0
	v_mov_b32_e32 v2, v10
	v_mov_b32_e32 v20, v12
	v_or_b32_e32 v12, 36, v31
	s_delay_alu instid0(VALU_DEP_3) | instskip(SKIP_1) | instid1(VALU_DEP_4)
	v_mad_u64_u32 v[17:18], null, s9, v26, v[2:3]
	v_mov_b32_e32 v2, v14
	v_lshlrev_b64 v[18:19], 3, v[19:20]
	s_delay_alu instid0(VALU_DEP_4) | instskip(NEXT) | instid1(VALU_DEP_3)
	v_mad_u64_u32 v[25:26], null, s8, v12, 0
	v_mad_u64_u32 v[27:28], null, s9, v29, v[2:3]
	;; [unrolled: 1-line block ×3, first 2 shown]
	v_mov_b32_e32 v10, v17
	s_delay_alu instid0(VALU_DEP_4) | instskip(SKIP_2) | instid1(VALU_DEP_4)
	v_mov_b32_e32 v2, v26
	v_add_co_u32 v34, s0, v30, v18
	v_mov_b32_e32 v14, v27
	v_lshlrev_b64 v[9:10], 3, v[9:10]
	s_delay_alu instid0(VALU_DEP_4) | instskip(SKIP_4) | instid1(VALU_DEP_4)
	v_mad_u64_u32 v[26:27], null, s9, v12, v[2:3]
	v_mov_b32_e32 v2, v29
	v_add_co_ci_u32_e64 v35, s0, v37, v19, s0
	v_lshlrev_b64 v[12:13], 3, v[13:14]
	v_add_co_u32 v19, s0, v30, v9
	v_mad_u64_u32 v[17:18], null, s9, v36, v[2:3]
	v_add_co_ci_u32_e64 v20, s0, v37, v10, s0
	v_lshlrev_b64 v[9:10], 3, v[25:26]
	v_add_co_u32 v12, s0, v30, v12
	s_delay_alu instid0(VALU_DEP_1) | instskip(SKIP_1) | instid1(VALU_DEP_4)
	v_add_co_ci_u32_e64 v13, s0, v37, v13, s0
	v_mov_b32_e32 v29, v17
	v_add_co_u32 v27, s0, v30, v9
	s_delay_alu instid0(VALU_DEP_2) | instskip(SKIP_1) | instid1(VALU_DEP_2)
	v_lshlrev_b64 v[17:18], 3, v[28:29]
	v_add_co_ci_u32_e64 v28, s0, v37, v10, s0
	v_add_co_u32 v36, s0, v30, v17
	s_delay_alu instid0(VALU_DEP_1)
	v_add_co_ci_u32_e64 v37, s0, v37, v18, s0
	s_clause 0x6
	global_load_b64 v[17:18], v[7:8], off
	global_load_b64 v[7:8], v[15:16], off
	;; [unrolled: 1-line block ×7, first 2 shown]
	v_mov_b32_e32 v35, v33
.LBB0_13:
	s_or_b32 exec_lo, exec_lo, s1
	s_waitcnt vmcnt(1)
	v_dual_add_f32 v2, v23, v3 :: v_dual_add_f32 v13, v21, v29
	v_mul_u32_u24_e32 v36, 44, v11
	s_waitcnt vmcnt(0)
	v_dual_add_f32 v11, v23, v27 :: v_dual_sub_f32 v12, v24, v28
	s_delay_alu instid0(VALU_DEP_3) | instskip(SKIP_2) | instid1(VALU_DEP_4)
	v_add_f32_e32 v2, v21, v2
	v_sub_f32_e32 v14, v22, v30
	v_cmp_eq_u32_e64 s0, 3, v31
	v_mul_f32_e32 v37, 0xbf27a4f4, v11
	s_delay_alu instid0(VALU_DEP_4) | instskip(SKIP_3) | instid1(VALU_DEP_4)
	v_dual_mul_f32 v15, 0x3f575c64, v11 :: v_dual_add_f32 v2, v5, v2
	v_mul_f32_e32 v39, 0xbf27a4f4, v13
	v_mul_f32_e32 v34, 0xbe11bafb, v11
	v_cmp_ne_u32_e64 s1, 3, v31
	v_dual_add_f32 v2, v17, v2 :: v_dual_fmamk_f32 v41, v12, 0x3f0a6770, v15
	s_delay_alu instid0(VALU_DEP_4) | instskip(NEXT) | instid1(VALU_DEP_2)
	v_fmamk_f32 v46, v14, 0x3f4178ce, v39
	v_dual_add_f32 v2, v7, v2 :: v_dual_fmac_f32 v15, 0xbf0a6770, v12
	s_delay_alu instid0(VALU_DEP_3) | instskip(NEXT) | instid1(VALU_DEP_2)
	v_dual_mul_f32 v38, 0x3ed4b147, v13 :: v_dual_add_f32 v41, v41, v3
	v_add_f32_e32 v2, v9, v2
	s_delay_alu instid0(VALU_DEP_3) | instskip(SKIP_1) | instid1(VALU_DEP_3)
	v_dual_mul_f32 v40, 0xbf75a155, v13 :: v_dual_add_f32 v15, v15, v3
	v_fmac_f32_e32 v39, 0xbf4178ce, v14
	v_add_f32_e32 v2, v19, v2
	s_delay_alu instid0(VALU_DEP_1) | instskip(NEXT) | instid1(VALU_DEP_1)
	v_add_f32_e32 v2, v25, v2
	v_add_f32_e32 v2, v29, v2
	v_mul_f32_e32 v16, 0x3ed4b147, v11
	v_mul_f32_e32 v11, 0xbf75a155, v11
	s_delay_alu instid0(VALU_DEP_2) | instskip(NEXT) | instid1(VALU_DEP_2)
	v_fmamk_f32 v42, v12, 0x3f68dda4, v16
	v_fmamk_f32 v45, v12, 0x3e903f40, v11
	v_fmac_f32_e32 v11, 0xbe903f40, v12
	v_fmamk_f32 v44, v12, 0x3f4178ce, v37
	v_fmac_f32_e32 v37, 0xbf4178ce, v12
	s_delay_alu instid0(VALU_DEP_4) | instskip(NEXT) | instid1(VALU_DEP_3)
	v_dual_fmac_f32 v16, 0xbf68dda4, v12 :: v_dual_add_f32 v45, v45, v3
	v_add_f32_e32 v44, v44, v3
	s_delay_alu instid0(VALU_DEP_3) | instskip(NEXT) | instid1(VALU_DEP_3)
	v_add_f32_e32 v37, v37, v3
	v_add_f32_e32 v16, v16, v3
	s_delay_alu instid0(VALU_DEP_1) | instskip(SKIP_3) | instid1(VALU_DEP_3)
	v_dual_add_f32 v16, v39, v16 :: v_dual_mul_f32 v39, 0xbe11bafb, v13
	v_fmamk_f32 v43, v12, 0x3f7d64f0, v34
	v_fmac_f32_e32 v34, 0xbf7d64f0, v12
	v_mul_f32_e32 v13, 0x3f575c64, v13
	v_dual_add_f32 v43, v43, v3 :: v_dual_fmamk_f32 v12, v14, 0x3f68dda4, v38
	v_add_f32_e32 v42, v42, v3
	s_delay_alu instid0(VALU_DEP_4) | instskip(SKIP_1) | instid1(VALU_DEP_4)
	v_add_f32_e32 v34, v34, v3
	v_add_f32_e32 v3, v11, v3
	v_dual_add_f32 v11, v27, v2 :: v_dual_add_f32 v2, v12, v41
	v_fmamk_f32 v41, v14, 0xbf7d64f0, v39
	v_fmac_f32_e32 v39, 0x3f7d64f0, v14
	s_delay_alu instid0(VALU_DEP_2) | instskip(NEXT) | instid1(VALU_DEP_1)
	v_dual_fmac_f32 v38, 0xbf68dda4, v14 :: v_dual_add_f32 v41, v41, v44
	v_add_f32_e32 v12, v38, v15
	v_fmamk_f32 v15, v14, 0xbe903f40, v40
	s_delay_alu instid0(VALU_DEP_1)
	v_add_f32_e32 v15, v15, v43
	v_sub_f32_e32 v43, v6, v26
	v_add_f32_e32 v38, v46, v42
	v_fmamk_f32 v42, v14, 0xbf0a6770, v13
	v_fmac_f32_e32 v40, 0x3e903f40, v14
	v_dual_fmac_f32 v13, 0x3f0a6770, v14 :: v_dual_add_f32 v14, v39, v37
	s_delay_alu instid0(VALU_DEP_2) | instskip(SKIP_1) | instid1(VALU_DEP_1)
	v_dual_add_f32 v37, v42, v45 :: v_dual_add_f32 v34, v40, v34
	v_add_f32_e32 v40, v5, v25
	v_dual_add_f32 v3, v13, v3 :: v_dual_mul_f32 v46, 0xbe11bafb, v40
	v_mul_f32_e32 v42, 0xbf75a155, v40
	s_delay_alu instid0(VALU_DEP_2) | instskip(NEXT) | instid1(VALU_DEP_1)
	v_fmamk_f32 v39, v43, 0x3f7d64f0, v46
	v_add_f32_e32 v2, v39, v2
	s_delay_alu instid0(VALU_DEP_3) | instskip(NEXT) | instid1(VALU_DEP_1)
	v_fmamk_f32 v39, v43, 0xbe903f40, v42
	v_dual_mul_f32 v13, 0x3ed4b147, v40 :: v_dual_add_f32 v38, v39, v38
	v_mul_f32_e32 v39, 0x3f575c64, v40
	s_delay_alu instid0(VALU_DEP_2) | instskip(SKIP_1) | instid1(VALU_DEP_1)
	v_fmamk_f32 v44, v43, 0xbf68dda4, v13
	v_fmac_f32_e32 v13, 0x3f68dda4, v43
	v_dual_mul_f32 v40, 0xbf27a4f4, v40 :: v_dual_add_f32 v13, v13, v34
	v_fmac_f32_e32 v46, 0xbf7d64f0, v43
	s_delay_alu instid0(VALU_DEP_1) | instskip(NEXT) | instid1(VALU_DEP_3)
	v_add_f32_e32 v12, v46, v12
	v_fmamk_f32 v46, v43, 0x3f4178ce, v40
	s_delay_alu instid0(VALU_DEP_1) | instskip(SKIP_1) | instid1(VALU_DEP_2)
	v_dual_fmac_f32 v40, 0xbf4178ce, v43 :: v_dual_add_f32 v37, v46, v37
	v_fmac_f32_e32 v42, 0x3e903f40, v43
	v_add_f32_e32 v3, v40, v3
	v_dual_add_f32 v15, v44, v15 :: v_dual_sub_f32 v44, v18, v20
	v_add_f32_e32 v34, v17, v19
	s_delay_alu instid0(VALU_DEP_4) | instskip(SKIP_2) | instid1(VALU_DEP_4)
	v_add_f32_e32 v16, v42, v16
	v_fmamk_f32 v42, v43, 0x3f0a6770, v39
	v_fmac_f32_e32 v39, 0xbf0a6770, v43
	v_mul_f32_e32 v45, 0xbf27a4f4, v34
	s_delay_alu instid0(VALU_DEP_2) | instskip(NEXT) | instid1(VALU_DEP_2)
	v_dual_add_f32 v41, v42, v41 :: v_dual_add_f32 v14, v39, v14
	v_fmamk_f32 v39, v44, 0x3f4178ce, v45
	v_mul_f32_e32 v43, 0xbf75a155, v34
	s_delay_alu instid0(VALU_DEP_2) | instskip(SKIP_2) | instid1(VALU_DEP_1)
	v_add_f32_e32 v2, v39, v2
	v_mul_f32_e32 v39, 0x3f575c64, v34
	v_fmac_f32_e32 v45, 0xbf4178ce, v44
	v_dual_add_f32 v12, v45, v12 :: v_dual_fmamk_f32 v45, v44, 0x3f0a6770, v39
	v_fmac_f32_e32 v39, 0xbf0a6770, v44
	s_delay_alu instid0(VALU_DEP_2) | instskip(NEXT) | instid1(VALU_DEP_2)
	v_dual_add_f32 v15, v45, v15 :: v_dual_mul_f32 v42, 0xbe11bafb, v34
	v_add_f32_e32 v13, v39, v13
	s_delay_alu instid0(VALU_DEP_2) | instskip(NEXT) | instid1(VALU_DEP_1)
	v_dual_add_f32 v39, v7, v9 :: v_dual_fmamk_f32 v40, v44, 0xbf7d64f0, v42
	v_dual_mul_f32 v45, 0xbf75a155, v39 :: v_dual_add_f32 v38, v40, v38
	v_fmamk_f32 v40, v44, 0x3e903f40, v43
	s_delay_alu instid0(VALU_DEP_1) | instskip(SKIP_1) | instid1(VALU_DEP_1)
	v_dual_fmac_f32 v43, 0xbe903f40, v44 :: v_dual_add_f32 v40, v40, v41
	v_mul_f32_e32 v34, 0x3ed4b147, v34
	v_dual_add_f32 v14, v43, v14 :: v_dual_fmamk_f32 v41, v44, 0xbf68dda4, v34
	s_delay_alu instid0(VALU_DEP_1) | instskip(SKIP_3) | instid1(VALU_DEP_3)
	v_dual_fmac_f32 v34, 0x3f68dda4, v44 :: v_dual_add_f32 v37, v41, v37
	v_fmac_f32_e32 v42, 0x3f7d64f0, v44
	v_mul_f32_e32 v41, 0x3f575c64, v39
	v_mul_f32_e32 v44, 0xbf27a4f4, v39
	v_add_f32_e32 v16, v42, v16
	v_sub_f32_e32 v42, v8, v10
	v_add_f32_e32 v34, v34, v3
	s_delay_alu instid0(VALU_DEP_2)
	v_fmamk_f32 v46, v42, 0xbf0a6770, v41
	v_fmamk_f32 v47, v42, 0x3f4178ce, v44
	v_fmac_f32_e32 v44, 0xbf4178ce, v42
	v_fmac_f32_e32 v41, 0x3f0a6770, v42
	v_fmamk_f32 v43, v42, 0x3e903f40, v45
	v_fmac_f32_e32 v45, 0xbe903f40, v42
	s_delay_alu instid0(VALU_DEP_2) | instskip(NEXT) | instid1(VALU_DEP_2)
	v_dual_add_f32 v43, v43, v2 :: v_dual_add_f32 v2, v41, v16
	v_dual_add_f32 v3, v45, v12 :: v_dual_add_f32 v12, v46, v38
	v_mul_f32_e32 v38, 0x3ed4b147, v39
	v_mul_f32_e32 v16, 0xbe11bafb, v39
	v_lshl_add_u32 v45, v36, 2, 0
	s_delay_alu instid0(VALU_DEP_3) | instskip(NEXT) | instid1(VALU_DEP_3)
	v_fmamk_f32 v39, v42, 0xbf68dda4, v38
	v_fmamk_f32 v41, v42, 0x3f7d64f0, v16
	v_fmac_f32_e32 v16, 0xbf7d64f0, v42
	v_fmac_f32_e32 v38, 0x3f68dda4, v42
	v_lshlrev_b32_e32 v42, 2, v32
	v_add_f32_e32 v39, v39, v40
	v_mad_u32_u24 v40, v31, 44, v45
	v_dual_add_f32 v16, v16, v34 :: v_dual_add_f32 v15, v47, v15
	v_dual_add_f32 v37, v41, v37 :: v_dual_add_f32 v14, v38, v14
	v_add_f32_e32 v34, v44, v13
	ds_store_2addr_b32 v40, v11, v43 offset1:1
	ds_store_2addr_b32 v40, v12, v15 offset0:2 offset1:3
	ds_store_2addr_b32 v40, v39, v37 offset0:4 offset1:5
	;; [unrolled: 1-line block ×4, first 2 shown]
	ds_store_b32 v40, v3 offset:40
	v_mad_i32_i24 v39, 0xffffffd8, v31, v40
	v_lshl_add_u32 v41, v31, 2, v45
	v_lshl_add_u32 v44, v35, 2, v45
	s_waitcnt lgkmcnt(0)
	s_barrier
	buffer_gl0_inv
	ds_load_2addr_b32 v[13:14], v39 offset0:11 offset1:15
	ds_load_2addr_b32 v[11:12], v39 offset0:22 offset1:26
	;; [unrolled: 1-line block ×3, first 2 shown]
	ds_load_b32 v38, v41
	ds_load_b32 v37, v44
	v_lshlrev_b32_e32 v43, 2, v36
                                        ; implicit-def: $vgpr36
	s_and_saveexec_b32 s2, s1
	s_cbranch_execz .LBB0_15
; %bb.14:
	s_delay_alu instid0(VALU_DEP_1)
	v_add3_u32 v34, 0, v42, v43
	ds_load_2addr_b32 v[2:3], v39 offset0:19 offset1:30
	ds_load_b32 v34, v34
	ds_load_b32 v36, v39 offset:164
.LBB0_15:
	s_or_b32 exec_lo, exec_lo, s2
	v_sub_f32_e32 v23, v23, v27
	v_add_f32_e32 v45, v24, v4
	v_dual_add_f32 v24, v24, v28 :: v_dual_sub_f32 v21, v21, v29
	s_delay_alu instid0(VALU_DEP_3) | instskip(NEXT) | instid1(VALU_DEP_3)
	v_dual_add_f32 v27, v22, v30 :: v_dual_mul_f32 v46, 0xbf7d64f0, v23
	v_dual_add_f32 v22, v22, v45 :: v_dual_mul_f32 v29, 0xbf0a6770, v23
	s_waitcnt lgkmcnt(0)
	s_barrier
	s_delay_alu instid0(VALU_DEP_1)
	v_dual_fmamk_f32 v53, v24, 0xbe11bafb, v46 :: v_dual_add_f32 v22, v6, v22
	v_dual_mul_f32 v45, 0xbf68dda4, v23 :: v_dual_mul_f32 v48, 0xbf68dda4, v21
	v_fma_f32 v46, 0xbe11bafb, v24, -v46
	buffer_gl0_inv
	v_dual_add_f32 v22, v18, v22 :: v_dual_mul_f32 v47, 0xbf4178ce, v23
	v_dual_sub_f32 v5, v5, v25 :: v_dual_add_f32 v46, v46, v4
	s_delay_alu instid0(VALU_DEP_2) | instskip(SKIP_2) | instid1(VALU_DEP_3)
	v_dual_add_f32 v53, v53, v4 :: v_dual_add_f32 v22, v8, v22
	v_dual_mul_f32 v23, 0xbe903f40, v23 :: v_dual_add_f32 v6, v6, v26
	v_dual_sub_f32 v17, v17, v19 :: v_dual_add_f32 v18, v18, v20
	v_dual_add_f32 v22, v10, v22 :: v_dual_mul_f32 v49, 0xbf4178ce, v21
	v_dual_add_f32 v8, v8, v10 :: v_dual_sub_f32 v7, v7, v9
	s_delay_alu instid0(VALU_DEP_2)
	v_add_f32_e32 v22, v20, v22
	v_fmamk_f32 v51, v24, 0x3f575c64, v29
	v_fma_f32 v29, 0x3f575c64, v24, -v29
	v_fmamk_f32 v52, v24, 0x3ed4b147, v45
	v_fma_f32 v45, 0x3ed4b147, v24, -v45
	v_fmamk_f32 v54, v24, 0xbf27a4f4, v47
	v_add_f32_e32 v22, v26, v22
	v_dual_mul_f32 v50, 0x3e903f40, v21 :: v_dual_add_f32 v51, v51, v4
	v_fma_f32 v47, 0xbf27a4f4, v24, -v47
	v_add_f32_e32 v29, v29, v4
	v_add_f32_e32 v45, v45, v4
	v_dual_fmamk_f32 v55, v24, 0xbf75a155, v23 :: v_dual_add_f32 v54, v54, v4
	v_fma_f32 v23, 0xbf75a155, v24, -v23
	v_fmamk_f32 v24, v27, 0x3ed4b147, v48
	v_fma_f32 v48, 0x3ed4b147, v27, -v48
	v_add_f32_e32 v22, v30, v22
	v_fmamk_f32 v56, v27, 0xbf27a4f4, v49
	v_add_f32_e32 v52, v52, v4
	v_add_f32_e32 v30, v47, v4
	s_delay_alu instid0(VALU_DEP_4)
	v_dual_add_f32 v47, v55, v4 :: v_dual_add_f32 v22, v28, v22
	v_dual_add_f32 v28, v48, v29 :: v_dual_fmamk_f32 v29, v27, 0xbf75a155, v50
	v_dual_add_f32 v4, v23, v4 :: v_dual_add_f32 v23, v24, v51
	v_fma_f32 v24, 0xbf27a4f4, v27, -v49
	v_add_f32_e32 v48, v56, v52
	v_fma_f32 v49, 0xbf75a155, v27, -v50
	v_add_f32_e32 v29, v29, v53
	s_delay_alu instid0(VALU_DEP_4) | instskip(SKIP_2) | instid1(VALU_DEP_2)
	v_add_f32_e32 v24, v24, v45
	v_mul_f32_e32 v45, 0x3f7d64f0, v21
	v_mul_f32_e32 v21, 0x3f0a6770, v21
	v_fmamk_f32 v25, v27, 0xbe11bafb, v45
	v_fma_f32 v45, 0xbe11bafb, v27, -v45
	s_delay_alu instid0(VALU_DEP_2) | instskip(NEXT) | instid1(VALU_DEP_4)
	v_dual_mul_f32 v26, 0xbf7d64f0, v5 :: v_dual_add_f32 v25, v25, v54
	v_dual_add_f32 v46, v49, v46 :: v_dual_fmamk_f32 v49, v27, 0x3f575c64, v21
	v_fma_f32 v21, 0x3f575c64, v27, -v21
	s_delay_alu instid0(VALU_DEP_4) | instskip(NEXT) | instid1(VALU_DEP_3)
	v_add_f32_e32 v27, v45, v30
	v_dual_add_f32 v30, v49, v47 :: v_dual_mul_f32 v47, 0x3e903f40, v5
	s_delay_alu instid0(VALU_DEP_3) | instskip(SKIP_1) | instid1(VALU_DEP_2)
	v_dual_fmamk_f32 v45, v6, 0xbe11bafb, v26 :: v_dual_add_f32 v4, v21, v4
	v_fma_f32 v21, 0xbe11bafb, v6, -v26
	v_dual_mul_f32 v26, 0x3f68dda4, v5 :: v_dual_add_f32 v23, v45, v23
	s_delay_alu instid0(VALU_DEP_4) | instskip(SKIP_1) | instid1(VALU_DEP_3)
	v_fmamk_f32 v45, v6, 0xbf75a155, v47
	v_fma_f32 v47, 0xbf75a155, v6, -v47
	v_dual_add_f32 v21, v21, v28 :: v_dual_fmamk_f32 v28, v6, 0x3ed4b147, v26
	v_fma_f32 v26, 0x3ed4b147, v6, -v26
	s_delay_alu instid0(VALU_DEP_4) | instskip(NEXT) | instid1(VALU_DEP_4)
	v_add_f32_e32 v45, v45, v48
	v_dual_add_f32 v24, v47, v24 :: v_dual_mul_f32 v47, 0xbf0a6770, v5
	v_mul_f32_e32 v5, 0xbf4178ce, v5
	v_add_f32_e32 v28, v28, v29
	v_add_f32_e32 v26, v26, v46
	s_delay_alu instid0(VALU_DEP_4) | instskip(SKIP_3) | instid1(VALU_DEP_1)
	v_fma_f32 v29, 0x3f575c64, v6, -v47
	v_mul_f32_e32 v20, 0xbf4178ce, v17
	v_fmamk_f32 v46, v6, 0xbf27a4f4, v5
	v_fma_f32 v5, 0xbf27a4f4, v6, -v5
	v_dual_fmamk_f32 v19, v6, 0x3f575c64, v47 :: v_dual_add_f32 v4, v5, v4
	s_delay_alu instid0(VALU_DEP_1) | instskip(SKIP_3) | instid1(VALU_DEP_3)
	v_add_f32_e32 v19, v19, v25
	v_dual_add_f32 v25, v29, v27 :: v_dual_fmamk_f32 v6, v18, 0xbf27a4f4, v20
	v_add_f32_e32 v27, v46, v30
	v_fma_f32 v20, 0xbf27a4f4, v18, -v20
	v_dual_add_f32 v5, v6, v23 :: v_dual_mul_f32 v6, 0xbf0a6770, v17
	s_delay_alu instid0(VALU_DEP_2) | instskip(NEXT) | instid1(VALU_DEP_2)
	v_add_f32_e32 v20, v20, v21
	v_fmamk_f32 v30, v18, 0x3f575c64, v6
	v_mul_f32_e32 v29, 0x3f7d64f0, v17
	v_fma_f32 v6, 0x3f575c64, v18, -v6
	s_delay_alu instid0(VALU_DEP_3) | instskip(NEXT) | instid1(VALU_DEP_3)
	v_add_f32_e32 v28, v30, v28
	v_fmamk_f32 v23, v18, 0xbe11bafb, v29
	v_fma_f32 v21, 0xbe11bafb, v18, -v29
	s_delay_alu instid0(VALU_DEP_4) | instskip(SKIP_1) | instid1(VALU_DEP_4)
	v_dual_mul_f32 v29, 0xbe903f40, v17 :: v_dual_add_f32 v6, v6, v26
	v_mul_f32_e32 v17, 0x3f68dda4, v17
	v_add_f32_e32 v23, v23, v45
	s_delay_alu instid0(VALU_DEP_3) | instskip(NEXT) | instid1(VALU_DEP_1)
	v_dual_add_f32 v21, v21, v24 :: v_dual_fmamk_f32 v24, v18, 0xbf75a155, v29
	v_dual_add_f32 v9, v24, v19 :: v_dual_fmamk_f32 v24, v18, 0x3ed4b147, v17
	v_fma_f32 v19, 0xbf75a155, v18, -v29
	v_fma_f32 v17, 0x3ed4b147, v18, -v17
	v_mul_f32_e32 v10, 0xbe903f40, v7
	s_delay_alu instid0(VALU_DEP_3) | instskip(NEXT) | instid1(VALU_DEP_3)
	v_dual_add_f32 v18, v19, v25 :: v_dual_add_f32 v19, v24, v27
	v_add_f32_e32 v17, v17, v4
	s_delay_alu instid0(VALU_DEP_3) | instskip(SKIP_2) | instid1(VALU_DEP_3)
	v_fmamk_f32 v25, v8, 0xbf75a155, v10
	v_mul_f32_e32 v24, 0x3f0a6770, v7
	v_fma_f32 v4, 0xbf75a155, v8, -v10
	v_dual_mul_f32 v10, 0xbf4178ce, v7 :: v_dual_add_f32 v25, v25, v5
	s_delay_alu instid0(VALU_DEP_3) | instskip(SKIP_1) | instid1(VALU_DEP_4)
	v_fmamk_f32 v26, v8, 0x3f575c64, v24
	v_fma_f32 v24, 0x3f575c64, v8, -v24
	v_add_f32_e32 v5, v4, v20
	s_delay_alu instid0(VALU_DEP_4) | instskip(SKIP_4) | instid1(VALU_DEP_2)
	v_fmamk_f32 v20, v8, 0xbf27a4f4, v10
	v_fma_f32 v10, 0xbf27a4f4, v8, -v10
	v_add_f32_e32 v23, v26, v23
	v_mul_f32_e32 v26, 0x3f68dda4, v7
	v_dual_add_f32 v4, v24, v21 :: v_dual_mul_f32 v7, 0xbf7d64f0, v7
	v_dual_add_f32 v10, v10, v6 :: v_dual_fmamk_f32 v21, v8, 0x3ed4b147, v26
	v_fma_f32 v24, 0x3ed4b147, v8, -v26
	s_delay_alu instid0(VALU_DEP_3) | instskip(SKIP_3) | instid1(VALU_DEP_4)
	v_fmamk_f32 v26, v8, 0xbe11bafb, v7
	v_fma_f32 v7, 0xbe11bafb, v8, -v7
	v_add_f32_e32 v20, v20, v28
	v_add_f32_e32 v6, v21, v9
	v_dual_add_f32 v8, v24, v18 :: v_dual_add_f32 v9, v26, v19
	s_delay_alu instid0(VALU_DEP_4)
	v_add_f32_e32 v7, v7, v17
	ds_store_2addr_b32 v40, v22, v25 offset1:1
	ds_store_2addr_b32 v40, v23, v20 offset0:2 offset1:3
	ds_store_2addr_b32 v40, v6, v9 offset0:4 offset1:5
	;; [unrolled: 1-line block ×4, first 2 shown]
	ds_store_b32 v40, v5 offset:40
	s_waitcnt lgkmcnt(0)
	s_barrier
	buffer_gl0_inv
	ds_load_2addr_b32 v[6:7], v39 offset0:11 offset1:15
	ds_load_2addr_b32 v[17:18], v39 offset0:22 offset1:26
	;; [unrolled: 1-line block ×3, first 2 shown]
	ds_load_b32 v23, v41
	ds_load_b32 v22, v44
                                        ; implicit-def: $vgpr21
	s_and_saveexec_b32 s2, s1
	s_cbranch_execz .LBB0_17
; %bb.16:
	v_add3_u32 v10, 0, v42, v43
	ds_load_2addr_b32 v[4:5], v39 offset0:19 offset1:30
	ds_load_b32 v10, v10
	ds_load_b32 v21, v39 offset:164
.LBB0_17:
	s_or_b32 exec_lo, exec_lo, s2
	s_and_saveexec_b32 s2, vcc_lo
	s_cbranch_execz .LBB0_20
; %bb.18:
	v_mul_u32_u24_e32 v24, 3, v31
	v_mad_u64_u32 v[45:46], null, s8, v31, 0
	v_mul_i32_i24_e32 v19, 3, v35
	v_dual_mov_b32 v20, 0 :: v_dual_add_nc_u32 v65, 11, v31
	s_delay_alu instid0(VALU_DEP_4) | instskip(SKIP_1) | instid1(VALU_DEP_3)
	v_lshlrev_b32_e32 v30, 3, v24
	v_mad_u64_u32 v[47:48], null, s8, v33, 0
	v_lshlrev_b64 v[28:29], 3, v[19:20]
	v_mov_b32_e32 v19, v46
	s_clause 0x1
	global_load_b128 v[24:27], v30, s[4:5]
	global_load_b64 v[43:44], v30, s[4:5] offset:16
	v_add_nc_u32_e32 v67, 33, v31
	v_mad_u64_u32 v[49:50], null, s8, v65, 0
	v_mov_b32_e32 v30, v48
	v_add_co_u32 v28, vcc_lo, s4, v28
	v_add_co_ci_u32_e32 v29, vcc_lo, s5, v29, vcc_lo
	s_clause 0x1
	global_load_b128 v[39:42], v[28:29], off
	global_load_b64 v[28:29], v[28:29], off offset:16
	v_mad_u64_u32 v[53:54], null, s8, v67, 0
	v_add_nc_u32_e32 v66, 22, v31
	v_add_nc_u32_e32 v69, 26, v31
	v_mad_u64_u32 v[61:62], null, s9, v31, v[19:20]
	v_mov_b32_e32 v19, v50
	s_delay_alu instid0(VALU_DEP_4)
	v_mad_u64_u32 v[51:52], null, s8, v66, 0
	v_mov_b32_e32 v46, v54
	v_mad_u64_u32 v[57:58], null, s8, v69, 0
	v_add_nc_u32_e32 v68, 15, v31
	v_add_nc_u32_e32 v70, 37, v31
	v_mad_u64_u32 v[62:63], null, s9, v33, v[30:31]
	v_mov_b32_e32 v35, v52
	s_delay_alu instid0(VALU_DEP_4)
	v_mad_u64_u32 v[55:56], null, s8, v68, 0
	v_mov_b32_e32 v33, v58
	v_mad_u64_u32 v[59:60], null, s8, v70, 0
	v_mad_u64_u32 v[63:64], null, s9, v65, v[19:20]
	;; [unrolled: 1-line block ×3, first 2 shown]
	v_mov_b32_e32 v30, v56
	v_mad_u64_u32 v[65:66], null, s9, v67, v[46:47]
	v_mov_b32_e32 v48, v60
	v_mov_b32_e32 v46, v61
	v_mad_u64_u32 v[60:61], null, s9, v69, v[33:34]
	v_mov_b32_e32 v52, v64
	v_add_co_u32 v0, vcc_lo, s10, v0
	v_add_co_ci_u32_e32 v1, vcc_lo, s11, v1, vcc_lo
	s_waitcnt vmcnt(3)
	s_delay_alu instid0(VALU_DEP_4) | instskip(SKIP_3) | instid1(VALU_DEP_3)
	v_dual_mov_b32 v58, v60 :: v_dual_mul_f32 v19, v11, v27
	v_mad_u64_u32 v[66:67], null, s9, v68, v[30:31]
	s_waitcnt vmcnt(2) lgkmcnt(2)
	v_dual_mov_b32 v50, v63 :: v_dual_mul_f32 v33, v8, v44
	v_dual_fmac_f32 v19, v17, v26 :: v_dual_mul_f32 v30, v6, v25
	v_mul_f32_e32 v27, v17, v27
	v_mad_u64_u32 v[67:68], null, s9, v70, v[48:49]
	s_waitcnt lgkmcnt(1)
	s_delay_alu instid0(VALU_DEP_3)
	v_dual_sub_f32 v19, v23, v19 :: v_dual_mov_b32 v48, v62
	v_mul_f32_e32 v25, v13, v25
	v_mul_f32_e32 v35, v15, v44
	v_fma_f32 v13, v13, v24, -v30
	v_fma_f32 v15, v15, v43, -v33
	v_lshlrev_b64 v[45:46], 3, v[45:46]
	v_dual_mov_b32 v54, v65 :: v_dual_fmac_f32 v25, v6, v24
	v_lshlrev_b64 v[47:48], 3, v[47:48]
	v_dual_mov_b32 v56, v66 :: v_dual_fmac_f32 v35, v8, v43
	v_mov_b32_e32 v60, v67
	v_fma_f32 v11, v11, v26, -v27
	s_waitcnt vmcnt(0)
	v_mul_f32_e32 v27, v16, v29
	v_dual_mul_f32 v8, v12, v42 :: v_dual_sub_f32 v15, v13, v15
	s_delay_alu instid0(VALU_DEP_3)
	v_dual_mul_f32 v6, v7, v40 :: v_dual_sub_f32 v11, v38, v11
	v_dual_mul_f32 v17, v9, v29 :: v_dual_mul_f32 v24, v18, v42
	v_dual_sub_f32 v29, v25, v35 :: v_dual_mul_f32 v26, v14, v40
	v_lshlrev_b64 v[49:50], 3, v[49:50]
	v_add_co_u32 v45, vcc_lo, v0, v45
	v_add_co_ci_u32_e32 v46, vcc_lo, v1, v46, vcc_lo
	v_dual_fmac_f32 v8, v18, v41 :: v_dual_fmac_f32 v27, v9, v28
	v_fma_f32 v14, v14, v39, -v6
	v_fma_f32 v16, v16, v28, -v17
	;; [unrolled: 1-line block ×3, first 2 shown]
	v_fmac_f32_e32 v26, v7, v39
	v_lshlrev_b64 v[51:52], 3, v[51:52]
	v_add_co_u32 v47, vcc_lo, v0, v47
	v_add_co_ci_u32_e32 v48, vcc_lo, v1, v48, vcc_lo
	v_lshlrev_b64 v[53:54], 3, v[53:54]
	v_add_co_u32 v49, vcc_lo, v0, v49
	v_add_f32_e32 v7, v19, v15
	v_sub_f32_e32 v6, v11, v29
	v_fma_f32 v17, v23, 2.0, -v19
	v_fma_f32 v18, v25, 2.0, -v29
	v_sub_f32_e32 v25, v37, v12
	v_fma_f32 v23, v38, 2.0, -v11
	v_fma_f32 v13, v13, 2.0, -v15
	s_waitcnt lgkmcnt(0)
	v_sub_f32_e32 v24, v22, v8
	v_sub_f32_e32 v15, v14, v16
	;; [unrolled: 1-line block ×3, first 2 shown]
	v_add_co_ci_u32_e32 v50, vcc_lo, v1, v50, vcc_lo
	v_lshlrev_b64 v[55:56], 3, v[55:56]
	v_add_co_u32 v51, vcc_lo, v0, v51
	v_add_co_ci_u32_e32 v52, vcc_lo, v1, v52, vcc_lo
	v_lshlrev_b64 v[57:58], 3, v[57:58]
	v_add_co_u32 v53, vcc_lo, v0, v53
	v_fma_f32 v9, v19, 2.0, -v7
	v_fma_f32 v8, v11, 2.0, -v6
	v_dual_sub_f32 v11, v23, v13 :: v_dual_sub_f32 v12, v17, v18
	v_fma_f32 v19, v22, 2.0, -v24
	v_fma_f32 v18, v26, 2.0, -v16
	;; [unrolled: 1-line block ×4, first 2 shown]
	v_add_co_ci_u32_e32 v54, vcc_lo, v1, v54, vcc_lo
	v_lshlrev_b64 v[59:60], 3, v[59:60]
	v_add_co_u32 v55, vcc_lo, v0, v55
	v_add_co_ci_u32_e32 v56, vcc_lo, v1, v56, vcc_lo
	v_dual_add_f32 v14, v24, v15 :: v_dual_sub_f32 v13, v25, v16
	v_fma_f32 v16, v17, 2.0, -v12
	v_sub_f32_e32 v18, v19, v18
	v_sub_f32_e32 v17, v26, v22
	v_add_co_u32 v57, vcc_lo, v0, v57
	v_fma_f32 v15, v23, 2.0, -v11
	v_add_co_ci_u32_e32 v58, vcc_lo, v1, v58, vcc_lo
	v_add_co_u32 v59, vcc_lo, v0, v59
	v_fma_f32 v23, v24, 2.0, -v14
	v_fma_f32 v22, v25, 2.0, -v13
	;; [unrolled: 1-line block ×4, first 2 shown]
	v_add_co_ci_u32_e32 v60, vcc_lo, v1, v60, vcc_lo
	s_clause 0x7
	global_store_b64 v[45:46], v[15:16], off
	global_store_b64 v[49:50], v[8:9], off
	;; [unrolled: 1-line block ×8, first 2 shown]
	s_and_b32 exec_lo, exec_lo, s1
	s_cbranch_execz .LBB0_20
; %bb.19:
	v_mul_i32_i24_e32 v6, 3, v32
	v_or_b32_e32 v24, 8, v31
	v_add_nc_u32_e32 v25, 19, v31
	s_delay_alu instid0(VALU_DEP_3) | instskip(NEXT) | instid1(VALU_DEP_3)
	v_cndmask_b32_e64 v19, v6, 0, s0
	v_mad_u64_u32 v[13:14], null, s8, v24, 0
	s_delay_alu instid0(VALU_DEP_3) | instskip(NEXT) | instid1(VALU_DEP_3)
	v_mad_u64_u32 v[15:16], null, s8, v25, 0
	v_lshlrev_b64 v[6:7], 3, v[19:20]
	s_delay_alu instid0(VALU_DEP_2) | instskip(NEXT) | instid1(VALU_DEP_2)
	v_mad_u64_u32 v[22:23], null, s9, v24, v[14:15]
	v_add_co_u32 v11, vcc_lo, s4, v6
	s_delay_alu instid0(VALU_DEP_3)
	v_add_co_ci_u32_e32 v12, vcc_lo, s5, v7, vcc_lo
	s_clause 0x1
	global_load_b128 v[6:9], v[11:12], off
	global_load_b64 v[11:12], v[11:12], off offset:16
	v_mov_b32_e32 v14, v22
	v_add_nc_u32_e32 v26, 30, v31
	s_delay_alu instid0(VALU_DEP_2) | instskip(NEXT) | instid1(VALU_DEP_2)
	v_lshlrev_b64 v[13:14], 3, v[13:14]
	v_mad_u64_u32 v[17:18], null, s8, v26, 0
	s_delay_alu instid0(VALU_DEP_1) | instskip(NEXT) | instid1(VALU_DEP_1)
	v_mad_u64_u32 v[23:24], null, s9, v25, v[16:17]
	v_dual_mov_b32 v16, v23 :: v_dual_add_nc_u32 v27, 41, v31
	s_delay_alu instid0(VALU_DEP_1) | instskip(NEXT) | instid1(VALU_DEP_2)
	v_mad_u64_u32 v[19:20], null, s8, v27, 0
	v_lshlrev_b64 v[15:16], 3, v[15:16]
	s_waitcnt vmcnt(1)
	v_mul_f32_e32 v23, v5, v9
	s_delay_alu instid0(VALU_DEP_3) | instskip(NEXT) | instid1(VALU_DEP_4)
	v_mad_u64_u32 v[24:25], null, s9, v26, v[18:19]
	v_mad_u64_u32 v[25:26], null, s9, v27, v[20:21]
	v_dual_mul_f32 v9, v3, v9 :: v_dual_mul_f32 v22, v4, v7
	s_delay_alu instid0(VALU_DEP_3) | instskip(SKIP_2) | instid1(VALU_DEP_2)
	v_dual_mul_f32 v7, v2, v7 :: v_dual_mov_b32 v18, v24
	s_waitcnt vmcnt(0)
	v_mul_f32_e32 v24, v21, v12
	v_dual_mov_b32 v20, v25 :: v_dual_fmac_f32 v7, v4, v6
	v_fmac_f32_e32 v9, v5, v8
	v_fma_f32 v22, v2, v6, -v22
	s_delay_alu instid0(VALU_DEP_4) | instskip(SKIP_4) | instid1(VALU_DEP_4)
	v_fma_f32 v5, v36, v11, -v24
	v_mul_f32_e32 v12, v36, v12
	v_fma_f32 v4, v3, v8, -v23
	v_lshlrev_b64 v[2:3], 3, v[19:20]
	v_sub_f32_e32 v20, v10, v9
	v_dual_sub_f32 v9, v22, v5 :: v_dual_fmac_f32 v12, v21, v11
	s_delay_alu instid0(VALU_DEP_4) | instskip(SKIP_1) | instid1(VALU_DEP_4)
	v_sub_f32_e32 v19, v34, v4
	v_lshlrev_b64 v[17:18], 3, v[17:18]
	v_fma_f32 v23, v10, 2.0, -v20
	s_delay_alu instid0(VALU_DEP_4) | instskip(SKIP_4) | instid1(VALU_DEP_4)
	v_fma_f32 v10, v22, 2.0, -v9
	v_sub_f32_e32 v8, v7, v12
	v_fma_f32 v21, v34, 2.0, -v19
	v_add_co_u32 v4, vcc_lo, v0, v13
	v_add_co_ci_u32_e32 v5, vcc_lo, v1, v14, vcc_lo
	v_fma_f32 v11, v7, 2.0, -v8
	v_add_co_u32 v6, vcc_lo, v0, v15
	v_sub_f32_e32 v10, v21, v10
	v_add_co_ci_u32_e32 v7, vcc_lo, v1, v16, vcc_lo
	s_delay_alu instid0(VALU_DEP_4)
	v_sub_f32_e32 v11, v23, v11
	v_dual_add_f32 v9, v20, v9 :: v_dual_sub_f32 v8, v19, v8
	v_add_co_u32 v12, vcc_lo, v0, v17
	v_add_co_ci_u32_e32 v13, vcc_lo, v1, v18, vcc_lo
	v_fma_f32 v16, v21, 2.0, -v10
	v_fma_f32 v17, v23, 2.0, -v11
	;; [unrolled: 1-line block ×4, first 2 shown]
	v_add_co_u32 v0, vcc_lo, v0, v2
	v_add_co_ci_u32_e32 v1, vcc_lo, v1, v3, vcc_lo
	s_clause 0x3
	global_store_b64 v[4:5], v[16:17], off
	global_store_b64 v[6:7], v[14:15], off
	;; [unrolled: 1-line block ×4, first 2 shown]
.LBB0_20:
	s_nop 0
	s_sendmsg sendmsg(MSG_DEALLOC_VGPRS)
	s_endpgm
	.section	.rodata,"a",@progbits
	.p2align	6, 0x0
	.amdhsa_kernel fft_rtc_fwd_len44_factors_11_4_wgs_64_tpt_4_halfLds_sp_ip_CI_sbrr_dirReg
		.amdhsa_group_segment_fixed_size 0
		.amdhsa_private_segment_fixed_size 0
		.amdhsa_kernarg_size 88
		.amdhsa_user_sgpr_count 15
		.amdhsa_user_sgpr_dispatch_ptr 0
		.amdhsa_user_sgpr_queue_ptr 0
		.amdhsa_user_sgpr_kernarg_segment_ptr 1
		.amdhsa_user_sgpr_dispatch_id 0
		.amdhsa_user_sgpr_private_segment_size 0
		.amdhsa_wavefront_size32 1
		.amdhsa_uses_dynamic_stack 0
		.amdhsa_enable_private_segment 0
		.amdhsa_system_sgpr_workgroup_id_x 1
		.amdhsa_system_sgpr_workgroup_id_y 0
		.amdhsa_system_sgpr_workgroup_id_z 0
		.amdhsa_system_sgpr_workgroup_info 0
		.amdhsa_system_vgpr_workitem_id 0
		.amdhsa_next_free_vgpr 71
		.amdhsa_next_free_sgpr 23
		.amdhsa_reserve_vcc 1
		.amdhsa_float_round_mode_32 0
		.amdhsa_float_round_mode_16_64 0
		.amdhsa_float_denorm_mode_32 3
		.amdhsa_float_denorm_mode_16_64 3
		.amdhsa_dx10_clamp 1
		.amdhsa_ieee_mode 1
		.amdhsa_fp16_overflow 0
		.amdhsa_workgroup_processor_mode 1
		.amdhsa_memory_ordered 1
		.amdhsa_forward_progress 0
		.amdhsa_shared_vgpr_count 0
		.amdhsa_exception_fp_ieee_invalid_op 0
		.amdhsa_exception_fp_denorm_src 0
		.amdhsa_exception_fp_ieee_div_zero 0
		.amdhsa_exception_fp_ieee_overflow 0
		.amdhsa_exception_fp_ieee_underflow 0
		.amdhsa_exception_fp_ieee_inexact 0
		.amdhsa_exception_int_div_zero 0
	.end_amdhsa_kernel
	.text
.Lfunc_end0:
	.size	fft_rtc_fwd_len44_factors_11_4_wgs_64_tpt_4_halfLds_sp_ip_CI_sbrr_dirReg, .Lfunc_end0-fft_rtc_fwd_len44_factors_11_4_wgs_64_tpt_4_halfLds_sp_ip_CI_sbrr_dirReg
                                        ; -- End function
	.section	.AMDGPU.csdata,"",@progbits
; Kernel info:
; codeLenInByte = 5948
; NumSgprs: 25
; NumVgprs: 71
; ScratchSize: 0
; MemoryBound: 0
; FloatMode: 240
; IeeeMode: 1
; LDSByteSize: 0 bytes/workgroup (compile time only)
; SGPRBlocks: 3
; VGPRBlocks: 8
; NumSGPRsForWavesPerEU: 25
; NumVGPRsForWavesPerEU: 71
; Occupancy: 16
; WaveLimiterHint : 1
; COMPUTE_PGM_RSRC2:SCRATCH_EN: 0
; COMPUTE_PGM_RSRC2:USER_SGPR: 15
; COMPUTE_PGM_RSRC2:TRAP_HANDLER: 0
; COMPUTE_PGM_RSRC2:TGID_X_EN: 1
; COMPUTE_PGM_RSRC2:TGID_Y_EN: 0
; COMPUTE_PGM_RSRC2:TGID_Z_EN: 0
; COMPUTE_PGM_RSRC2:TIDIG_COMP_CNT: 0
	.text
	.p2alignl 7, 3214868480
	.fill 96, 4, 3214868480
	.type	__hip_cuid_6d777634ca4fe168,@object ; @__hip_cuid_6d777634ca4fe168
	.section	.bss,"aw",@nobits
	.globl	__hip_cuid_6d777634ca4fe168
__hip_cuid_6d777634ca4fe168:
	.byte	0                               ; 0x0
	.size	__hip_cuid_6d777634ca4fe168, 1

	.ident	"AMD clang version 19.0.0git (https://github.com/RadeonOpenCompute/llvm-project roc-6.4.0 25133 c7fe45cf4b819c5991fe208aaa96edf142730f1d)"
	.section	".note.GNU-stack","",@progbits
	.addrsig
	.addrsig_sym __hip_cuid_6d777634ca4fe168
	.amdgpu_metadata
---
amdhsa.kernels:
  - .args:
      - .actual_access:  read_only
        .address_space:  global
        .offset:         0
        .size:           8
        .value_kind:     global_buffer
      - .offset:         8
        .size:           8
        .value_kind:     by_value
      - .actual_access:  read_only
        .address_space:  global
        .offset:         16
        .size:           8
        .value_kind:     global_buffer
      - .actual_access:  read_only
        .address_space:  global
        .offset:         24
        .size:           8
        .value_kind:     global_buffer
      - .offset:         32
        .size:           8
        .value_kind:     by_value
      - .actual_access:  read_only
        .address_space:  global
        .offset:         40
        .size:           8
        .value_kind:     global_buffer
      - .actual_access:  read_only
        .address_space:  global
        .offset:         48
        .size:           8
        .value_kind:     global_buffer
      - .offset:         56
        .size:           4
        .value_kind:     by_value
      - .actual_access:  read_only
        .address_space:  global
        .offset:         64
        .size:           8
        .value_kind:     global_buffer
      - .actual_access:  read_only
        .address_space:  global
        .offset:         72
        .size:           8
        .value_kind:     global_buffer
      - .address_space:  global
        .offset:         80
        .size:           8
        .value_kind:     global_buffer
    .group_segment_fixed_size: 0
    .kernarg_segment_align: 8
    .kernarg_segment_size: 88
    .language:       OpenCL C
    .language_version:
      - 2
      - 0
    .max_flat_workgroup_size: 64
    .name:           fft_rtc_fwd_len44_factors_11_4_wgs_64_tpt_4_halfLds_sp_ip_CI_sbrr_dirReg
    .private_segment_fixed_size: 0
    .sgpr_count:     25
    .sgpr_spill_count: 0
    .symbol:         fft_rtc_fwd_len44_factors_11_4_wgs_64_tpt_4_halfLds_sp_ip_CI_sbrr_dirReg.kd
    .uniform_work_group_size: 1
    .uses_dynamic_stack: false
    .vgpr_count:     71
    .vgpr_spill_count: 0
    .wavefront_size: 32
    .workgroup_processor_mode: 1
amdhsa.target:   amdgcn-amd-amdhsa--gfx1100
amdhsa.version:
  - 1
  - 2
...

	.end_amdgpu_metadata
